;; amdgpu-corpus repo=ROCm/rocFFT kind=compiled arch=gfx906 opt=O3
	.text
	.amdgcn_target "amdgcn-amd-amdhsa--gfx906"
	.amdhsa_code_object_version 6
	.protected	fft_rtc_back_len768_factors_16_3_16_wgs_48_tpt_48_halfLds_sp_ip_CI_unitstride_sbrr_dirReg ; -- Begin function fft_rtc_back_len768_factors_16_3_16_wgs_48_tpt_48_halfLds_sp_ip_CI_unitstride_sbrr_dirReg
	.globl	fft_rtc_back_len768_factors_16_3_16_wgs_48_tpt_48_halfLds_sp_ip_CI_unitstride_sbrr_dirReg
	.p2align	8
	.type	fft_rtc_back_len768_factors_16_3_16_wgs_48_tpt_48_halfLds_sp_ip_CI_unitstride_sbrr_dirReg,@function
fft_rtc_back_len768_factors_16_3_16_wgs_48_tpt_48_halfLds_sp_ip_CI_unitstride_sbrr_dirReg: ; @fft_rtc_back_len768_factors_16_3_16_wgs_48_tpt_48_halfLds_sp_ip_CI_unitstride_sbrr_dirReg
; %bb.0:
	s_load_dwordx2 s[2:3], s[4:5], 0x50
	s_load_dwordx4 s[8:11], s[4:5], 0x0
	s_load_dwordx2 s[12:13], s[4:5], 0x18
	v_mul_u32_u24_e32 v1, 0x556, v0
	v_add_u32_sdwa v5, s6, v1 dst_sel:DWORD dst_unused:UNUSED_PAD src0_sel:DWORD src1_sel:WORD_1
	v_mov_b32_e32 v3, 0
	s_waitcnt lgkmcnt(0)
	v_cmp_lt_u64_e64 s[0:1], s[10:11], 2
	v_mov_b32_e32 v1, 0
	v_mov_b32_e32 v6, v3
	s_and_b64 vcc, exec, s[0:1]
	v_mov_b32_e32 v2, 0
	s_cbranch_vccnz .LBB0_8
; %bb.1:
	s_load_dwordx2 s[0:1], s[4:5], 0x10
	s_add_u32 s6, s12, 8
	s_addc_u32 s7, s13, 0
	v_mov_b32_e32 v1, 0
	v_mov_b32_e32 v2, 0
	s_waitcnt lgkmcnt(0)
	s_add_u32 s14, s0, 8
	s_addc_u32 s15, s1, 0
	s_mov_b64 s[16:17], 1
.LBB0_2:                                ; =>This Inner Loop Header: Depth=1
	s_load_dwordx2 s[18:19], s[14:15], 0x0
                                        ; implicit-def: $vgpr7_vgpr8
	s_waitcnt lgkmcnt(0)
	v_or_b32_e32 v4, s19, v6
	v_cmp_ne_u64_e32 vcc, 0, v[3:4]
	s_and_saveexec_b64 s[0:1], vcc
	s_xor_b64 s[20:21], exec, s[0:1]
	s_cbranch_execz .LBB0_4
; %bb.3:                                ;   in Loop: Header=BB0_2 Depth=1
	v_cvt_f32_u32_e32 v4, s18
	v_cvt_f32_u32_e32 v7, s19
	s_sub_u32 s0, 0, s18
	s_subb_u32 s1, 0, s19
	v_mac_f32_e32 v4, 0x4f800000, v7
	v_rcp_f32_e32 v4, v4
	v_mul_f32_e32 v4, 0x5f7ffffc, v4
	v_mul_f32_e32 v7, 0x2f800000, v4
	v_trunc_f32_e32 v7, v7
	v_mac_f32_e32 v4, 0xcf800000, v7
	v_cvt_u32_f32_e32 v7, v7
	v_cvt_u32_f32_e32 v4, v4
	v_mul_lo_u32 v8, s0, v7
	v_mul_hi_u32 v9, s0, v4
	v_mul_lo_u32 v11, s1, v4
	v_mul_lo_u32 v10, s0, v4
	v_add_u32_e32 v8, v9, v8
	v_add_u32_e32 v8, v8, v11
	v_mul_hi_u32 v9, v4, v10
	v_mul_lo_u32 v11, v4, v8
	v_mul_hi_u32 v13, v4, v8
	v_mul_hi_u32 v12, v7, v10
	v_mul_lo_u32 v10, v7, v10
	v_mul_hi_u32 v14, v7, v8
	v_add_co_u32_e32 v9, vcc, v9, v11
	v_addc_co_u32_e32 v11, vcc, 0, v13, vcc
	v_mul_lo_u32 v8, v7, v8
	v_add_co_u32_e32 v9, vcc, v9, v10
	v_addc_co_u32_e32 v9, vcc, v11, v12, vcc
	v_addc_co_u32_e32 v10, vcc, 0, v14, vcc
	v_add_co_u32_e32 v8, vcc, v9, v8
	v_addc_co_u32_e32 v9, vcc, 0, v10, vcc
	v_add_co_u32_e32 v4, vcc, v4, v8
	v_addc_co_u32_e32 v7, vcc, v7, v9, vcc
	v_mul_lo_u32 v8, s0, v7
	v_mul_hi_u32 v9, s0, v4
	v_mul_lo_u32 v10, s1, v4
	v_mul_lo_u32 v11, s0, v4
	v_add_u32_e32 v8, v9, v8
	v_add_u32_e32 v8, v8, v10
	v_mul_lo_u32 v12, v4, v8
	v_mul_hi_u32 v13, v4, v11
	v_mul_hi_u32 v14, v4, v8
	;; [unrolled: 1-line block ×3, first 2 shown]
	v_mul_lo_u32 v11, v7, v11
	v_mul_hi_u32 v9, v7, v8
	v_add_co_u32_e32 v12, vcc, v13, v12
	v_addc_co_u32_e32 v13, vcc, 0, v14, vcc
	v_mul_lo_u32 v8, v7, v8
	v_add_co_u32_e32 v11, vcc, v12, v11
	v_addc_co_u32_e32 v10, vcc, v13, v10, vcc
	v_addc_co_u32_e32 v9, vcc, 0, v9, vcc
	v_add_co_u32_e32 v8, vcc, v10, v8
	v_addc_co_u32_e32 v9, vcc, 0, v9, vcc
	v_add_co_u32_e32 v4, vcc, v4, v8
	v_addc_co_u32_e32 v9, vcc, v7, v9, vcc
	v_mad_u64_u32 v[7:8], s[0:1], v5, v9, 0
	v_mul_hi_u32 v10, v5, v4
	v_add_co_u32_e32 v11, vcc, v10, v7
	v_addc_co_u32_e32 v12, vcc, 0, v8, vcc
	v_mad_u64_u32 v[7:8], s[0:1], v6, v4, 0
	v_mad_u64_u32 v[9:10], s[0:1], v6, v9, 0
	v_add_co_u32_e32 v4, vcc, v11, v7
	v_addc_co_u32_e32 v4, vcc, v12, v8, vcc
	v_addc_co_u32_e32 v7, vcc, 0, v10, vcc
	v_add_co_u32_e32 v4, vcc, v4, v9
	v_addc_co_u32_e32 v9, vcc, 0, v7, vcc
	v_mul_lo_u32 v10, s19, v4
	v_mul_lo_u32 v11, s18, v9
	v_mad_u64_u32 v[7:8], s[0:1], s18, v4, 0
	v_add3_u32 v8, v8, v11, v10
	v_sub_u32_e32 v10, v6, v8
	v_mov_b32_e32 v11, s19
	v_sub_co_u32_e32 v7, vcc, v5, v7
	v_subb_co_u32_e64 v10, s[0:1], v10, v11, vcc
	v_subrev_co_u32_e64 v11, s[0:1], s18, v7
	v_subbrev_co_u32_e64 v10, s[0:1], 0, v10, s[0:1]
	v_cmp_le_u32_e64 s[0:1], s19, v10
	v_cndmask_b32_e64 v12, 0, -1, s[0:1]
	v_cmp_le_u32_e64 s[0:1], s18, v11
	v_cndmask_b32_e64 v11, 0, -1, s[0:1]
	v_cmp_eq_u32_e64 s[0:1], s19, v10
	v_cndmask_b32_e64 v10, v12, v11, s[0:1]
	v_add_co_u32_e64 v11, s[0:1], 2, v4
	v_addc_co_u32_e64 v12, s[0:1], 0, v9, s[0:1]
	v_add_co_u32_e64 v13, s[0:1], 1, v4
	v_addc_co_u32_e64 v14, s[0:1], 0, v9, s[0:1]
	v_subb_co_u32_e32 v8, vcc, v6, v8, vcc
	v_cmp_ne_u32_e64 s[0:1], 0, v10
	v_cmp_le_u32_e32 vcc, s19, v8
	v_cndmask_b32_e64 v10, v14, v12, s[0:1]
	v_cndmask_b32_e64 v12, 0, -1, vcc
	v_cmp_le_u32_e32 vcc, s18, v7
	v_cndmask_b32_e64 v7, 0, -1, vcc
	v_cmp_eq_u32_e32 vcc, s19, v8
	v_cndmask_b32_e32 v7, v12, v7, vcc
	v_cmp_ne_u32_e32 vcc, 0, v7
	v_cndmask_b32_e64 v7, v13, v11, s[0:1]
	v_cndmask_b32_e32 v8, v9, v10, vcc
	v_cndmask_b32_e32 v7, v4, v7, vcc
.LBB0_4:                                ;   in Loop: Header=BB0_2 Depth=1
	s_andn2_saveexec_b64 s[0:1], s[20:21]
	s_cbranch_execz .LBB0_6
; %bb.5:                                ;   in Loop: Header=BB0_2 Depth=1
	v_cvt_f32_u32_e32 v4, s18
	s_sub_i32 s20, 0, s18
	v_rcp_iflag_f32_e32 v4, v4
	v_mul_f32_e32 v4, 0x4f7ffffe, v4
	v_cvt_u32_f32_e32 v4, v4
	v_mul_lo_u32 v7, s20, v4
	v_mul_hi_u32 v7, v4, v7
	v_add_u32_e32 v4, v4, v7
	v_mul_hi_u32 v4, v5, v4
	v_mul_lo_u32 v7, v4, s18
	v_add_u32_e32 v8, 1, v4
	v_sub_u32_e32 v7, v5, v7
	v_subrev_u32_e32 v9, s18, v7
	v_cmp_le_u32_e32 vcc, s18, v7
	v_cndmask_b32_e32 v7, v7, v9, vcc
	v_cndmask_b32_e32 v4, v4, v8, vcc
	v_add_u32_e32 v8, 1, v4
	v_cmp_le_u32_e32 vcc, s18, v7
	v_cndmask_b32_e32 v7, v4, v8, vcc
	v_mov_b32_e32 v8, v3
.LBB0_6:                                ;   in Loop: Header=BB0_2 Depth=1
	s_or_b64 exec, exec, s[0:1]
	v_mul_lo_u32 v4, v8, s18
	v_mul_lo_u32 v11, v7, s19
	v_mad_u64_u32 v[9:10], s[0:1], v7, s18, 0
	s_load_dwordx2 s[0:1], s[6:7], 0x0
	s_add_u32 s16, s16, 1
	v_add3_u32 v4, v10, v11, v4
	v_sub_co_u32_e32 v5, vcc, v5, v9
	v_subb_co_u32_e32 v4, vcc, v6, v4, vcc
	s_waitcnt lgkmcnt(0)
	v_mul_lo_u32 v4, s0, v4
	v_mul_lo_u32 v6, s1, v5
	v_mad_u64_u32 v[1:2], s[0:1], s0, v5, v[1:2]
	s_addc_u32 s17, s17, 0
	s_add_u32 s6, s6, 8
	v_add3_u32 v2, v6, v2, v4
	v_mov_b32_e32 v4, s10
	v_mov_b32_e32 v5, s11
	s_addc_u32 s7, s7, 0
	v_cmp_ge_u64_e32 vcc, s[16:17], v[4:5]
	s_add_u32 s14, s14, 8
	s_addc_u32 s15, s15, 0
	s_cbranch_vccnz .LBB0_9
; %bb.7:                                ;   in Loop: Header=BB0_2 Depth=1
	v_mov_b32_e32 v5, v7
	v_mov_b32_e32 v6, v8
	s_branch .LBB0_2
.LBB0_8:
	v_mov_b32_e32 v8, v6
	v_mov_b32_e32 v7, v5
.LBB0_9:
	s_lshl_b64 s[0:1], s[10:11], 3
	s_add_u32 s0, s12, s0
	s_addc_u32 s1, s13, s1
	s_load_dwordx2 s[6:7], s[0:1], 0x0
	s_load_dwordx2 s[10:11], s[4:5], 0x20
                                        ; implicit-def: $vgpr40
	s_waitcnt lgkmcnt(0)
	v_mad_u64_u32 v[9:10], s[0:1], s6, v7, v[1:2]
	s_mov_b32 s0, 0x5555556
	v_mul_hi_u32 v1, v0, s0
	v_mul_lo_u32 v3, s6, v8
	v_mul_lo_u32 v4, s7, v7
	v_cmp_gt_u64_e32 vcc, s[10:11], v[7:8]
	v_cmp_le_u64_e64 s[0:1], s[10:11], v[7:8]
	v_mul_u32_u24_e32 v1, 48, v1
	v_add3_u32 v10, v4, v10, v3
	v_sub_u32_e32 v3, v0, v1
                                        ; implicit-def: $sgpr6_sgpr7
                                        ; implicit-def: $sgpr10
	s_and_saveexec_b64 s[4:5], s[0:1]
	s_xor_b64 s[0:1], exec, s[4:5]
; %bb.10:
	v_or_b32_e32 v40, 0xc0, v3
	s_mov_b32 s10, 0
	s_mov_b64 s[6:7], 0
; %bb.11:
	s_or_saveexec_b64 s[4:5], s[0:1]
	v_mov_b32_e32 v5, s6
	v_lshlrev_b64 v[0:1], 3, v[9:10]
	v_mov_b32_e32 v8, s7
	v_mov_b32_e32 v20, s7
	v_mov_b32_e32 v24, s7
	v_mov_b32_e32 v16, s7
	v_mov_b32_e32 v18, s7
	v_mov_b32_e32 v10, s7
	v_mov_b32_e32 v14, s7
	v_mov_b32_e32 v2, s10
	v_mov_b32_e32 v6, s7
	v_mov_b32_e32 v7, s6
	v_mov_b32_e32 v19, s6
	v_mov_b32_e32 v23, s6
	v_mov_b32_e32 v15, s6
	v_mov_b32_e32 v17, s6
	v_mov_b32_e32 v9, s6
	v_mov_b32_e32 v13, s6
                                        ; implicit-def: $vgpr12
                                        ; implicit-def: $vgpr26
                                        ; implicit-def: $vgpr30
                                        ; implicit-def: $vgpr22
                                        ; implicit-def: $vgpr36
                                        ; implicit-def: $vgpr28
                                        ; implicit-def: $vgpr32
                                        ; implicit-def: $vgpr34
	s_xor_b64 exec, exec, s[4:5]
	s_cbranch_execz .LBB0_13
; %bb.12:
	v_mov_b32_e32 v4, 0
	v_mov_b32_e32 v2, s3
	v_add_co_u32_e64 v21, s[0:1], s2, v0
	v_lshlrev_b64 v[5:6], 3, v[3:4]
	v_addc_co_u32_e64 v2, s[0:1], v2, v1, s[0:1]
	v_or_b32_e32 v11, 0x240, v3
	v_mov_b32_e32 v12, v4
	v_add_co_u32_e64 v37, s[0:1], v21, v5
	v_lshlrev_b64 v[11:12], 3, v[11:12]
	v_addc_co_u32_e64 v38, s[0:1], v2, v6, s[0:1]
	v_add_co_u32_e64 v39, s[0:1], v21, v11
	s_movk_i32 s6, 0x1000
	v_addc_co_u32_e64 v40, s[0:1], v2, v12, s[0:1]
	v_add_co_u32_e64 v41, s[0:1], s6, v37
	global_load_dwordx2 v[5:6], v[37:38], off
	global_load_dwordx2 v[15:16], v[37:38], off offset:384
	global_load_dwordx2 v[19:20], v[37:38], off offset:768
	;; [unrolled: 1-line block ×7, first 2 shown]
	v_addc_co_u32_e64 v42, s[0:1], 0, v38, s[0:1]
	global_load_dwordx2 v[11:12], v[37:38], off offset:3072
	global_load_dwordx2 v[25:26], v[37:38], off offset:3456
	;; [unrolled: 1-line block ×6, first 2 shown]
	global_load_dwordx2 v[35:36], v[39:40], off
	global_load_dwordx2 v[33:34], v[41:42], off offset:1664
	v_or_b32_e32 v40, 0xc0, v3
	v_mov_b32_e32 v2, v3
.LBB0_13:
	s_or_b64 exec, exec, s[4:5]
	s_waitcnt vmcnt(6)
	v_sub_f32_e32 v26, v16, v26
	v_fma_f32 v41, v16, 2.0, -v26
	s_waitcnt vmcnt(3)
	v_sub_f32_e32 v16, v17, v27
	v_sub_f32_e32 v27, v18, v28
	v_fma_f32 v28, v18, 2.0, -v27
	v_sub_f32_e32 v18, v9, v21
	v_sub_f32_e32 v4, v19, v29
	;; [unrolled: 1-line block ×4, first 2 shown]
	v_fma_f32 v17, v17, 2.0, -v16
	v_sub_f32_e32 v21, v10, v22
	v_fma_f32 v22, v9, 2.0, -v18
	s_waitcnt vmcnt(0)
	v_sub_f32_e32 v9, v13, v33
	v_sub_f32_e32 v16, v26, v16
	v_fma_f32 v37, v19, 2.0, -v4
	v_fma_f32 v19, v20, 2.0, -v29
	v_sub_f32_e32 v20, v23, v31
	v_fma_f32 v42, v10, 2.0, -v21
	v_sub_f32_e32 v10, v14, v34
	v_add_f32_e32 v27, v25, v27
	v_fma_f32 v26, v26, 2.0, -v16
	v_sub_f32_e32 v31, v21, v9
	v_fma_f32 v15, v15, 2.0, -v25
	v_fma_f32 v33, v13, 2.0, -v9
	;; [unrolled: 1-line block ×4, first 2 shown]
	v_add_f32_e32 v10, v18, v10
	v_fma_f32 v21, v21, 2.0, -v31
	v_mov_b32_e32 v13, v26
	v_fma_f32 v18, v18, 2.0, -v10
	v_mov_b32_e32 v9, v25
	v_fmac_f32_e32 v13, 0xbf3504f3, v21
	v_mov_b32_e32 v30, v16
	v_fmac_f32_e32 v9, 0xbf3504f3, v18
	v_fmac_f32_e32 v13, 0xbf3504f3, v18
	v_mov_b32_e32 v18, v27
	v_fmac_f32_e32 v30, 0x3f3504f3, v31
	v_sub_f32_e32 v35, v7, v35
	v_sub_f32_e32 v36, v8, v36
	;; [unrolled: 1-line block ×3, first 2 shown]
	v_fmac_f32_e32 v18, 0x3f3504f3, v10
	v_fmac_f32_e32 v30, 0xbf3504f3, v10
	v_sub_f32_e32 v10, v5, v11
	v_fma_f32 v5, v5, 2.0, -v10
	v_fma_f32 v7, v7, 2.0, -v35
	v_add_f32_e32 v34, v10, v36
	v_add_f32_e32 v45, v4, v32
	v_sub_f32_e32 v17, v15, v17
	v_fmac_f32_e32 v9, 0x3f3504f3, v21
	v_sub_f32_e32 v21, v5, v7
	v_fma_f32 v7, v10, 2.0, -v34
	v_fma_f32 v47, v4, 2.0, -v45
	;; [unrolled: 1-line block ×3, first 2 shown]
	v_sub_f32_e32 v15, v22, v33
	v_sub_f32_e32 v46, v29, v20
	v_fma_f32 v11, v22, 2.0, -v15
	v_mov_b32_e32 v22, v7
	v_fma_f32 v23, v23, 2.0, -v20
	v_fma_f32 v29, v29, 2.0, -v46
	v_fmac_f32_e32 v22, 0xbf3504f3, v47
	v_fmac_f32_e32 v18, 0x3f3504f3, v31
	v_sub_f32_e32 v31, v37, v23
	v_fmac_f32_e32 v22, 0x3f3504f3, v29
	v_fma_f32 v5, v5, 2.0, -v21
	v_fma_f32 v10, v37, 2.0, -v31
	;; [unrolled: 1-line block ×4, first 2 shown]
	v_sub_f32_e32 v20, v5, v10
	v_sub_f32_e32 v7, v4, v11
	v_fma_f32 v32, v25, 2.0, -v9
	v_fma_f32 v33, v26, 2.0, -v13
	v_mov_b32_e32 v11, v23
	v_mov_b32_e32 v26, v34
	v_fma_f32 v5, v5, 2.0, -v20
	v_fma_f32 v4, v4, 2.0, -v7
	v_fmac_f32_e32 v11, 0xbf6c835e, v32
	v_sub_f32_e32 v39, v19, v24
	v_fmac_f32_e32 v26, 0x3f3504f3, v45
	v_sub_f32_e32 v10, v5, v4
	;; [unrolled: 2-line block ×3, first 2 shown]
	v_add_f32_e32 v25, v21, v39
	v_fmac_f32_e32 v26, 0x3f3504f3, v46
	v_fma_f32 v4, v5, 2.0, -v10
	v_fma_f32 v5, v23, 2.0, -v11
	v_sub_f32_e32 v23, v41, v28
	v_fma_f32 v21, v21, 2.0, -v25
	v_fma_f32 v28, v34, 2.0, -v26
	v_add_f32_e32 v54, v17, v24
	v_sub_f32_e32 v53, v23, v15
	v_fma_f32 v48, v17, 2.0, -v54
	v_fma_f32 v37, v27, 2.0, -v18
	v_mov_b32_e32 v14, v21
	v_mov_b32_e32 v15, v28
	v_fma_f32 v38, v16, 2.0, -v30
	v_fmac_f32_e32 v14, 0xbf3504f3, v48
	v_fma_f32 v27, v23, 2.0, -v53
	v_fmac_f32_e32 v15, 0xbec3ef15, v37
	v_fmac_f32_e32 v14, 0x3f3504f3, v27
	;; [unrolled: 1-line block ×3, first 2 shown]
	v_fma_f32 v16, v21, 2.0, -v14
	v_fma_f32 v17, v28, 2.0, -v15
	v_lshl_add_u32 v34, v3, 6, 0
	ds_write2_b64 v34, v[4:5], v[16:17] offset1:1
	v_fma_f32 v43, v41, 2.0, -v23
	v_fma_f32 v4, v42, 2.0, -v24
	v_sub_f32_e32 v44, v43, v4
	v_mov_b32_e32 v17, v22
	v_mov_b32_e32 v4, v25
	;; [unrolled: 1-line block ×3, first 2 shown]
	v_fmac_f32_e32 v17, 0x3ec3ef15, v9
	v_fmac_f32_e32 v4, 0x3f3504f3, v54
	;; [unrolled: 1-line block ×3, first 2 shown]
	v_add_f32_e32 v16, v20, v44
	v_fmac_f32_e32 v17, 0x3f6c835e, v13
	v_fmac_f32_e32 v4, 0x3f3504f3, v53
	;; [unrolled: 1-line block ×3, first 2 shown]
	v_fma_f32 v20, v20, 2.0, -v16
	v_fma_f32 v21, v22, 2.0, -v17
	;; [unrolled: 1-line block ×4, first 2 shown]
	s_movk_i32 s0, 0xffc4
	ds_write2_b64 v34, v[20:21], v[22:23] offset0:2 offset1:3
	ds_write2_b64 v34, v[10:11], v[14:15] offset0:4 offset1:5
	;; [unrolled: 1-line block ×3, first 2 shown]
	v_mad_i32_i24 v4, v3, s0, v34
	v_mul_f32_e32 v51, 0x3f3504f3, v47
	v_mul_f32_e32 v52, 0x3f3504f3, v29
	;; [unrolled: 1-line block ×4, first 2 shown]
	s_waitcnt lgkmcnt(0)
	; wave barrier
	s_waitcnt lgkmcnt(0)
	v_add_u32_e32 v16, 0x400, v4
	v_add_u32_e32 v17, 0x800, v4
	ds_read2_b32 v[14:15], v4 offset1:48
	ds_read2st64_b32 v[20:21], v4 offset0:7 offset1:8
	ds_read2_b32 v[10:11], v4 offset0:96 offset1:144
	ds_read2_b32 v[28:29], v16 offset1:48
	ds_read2_b32 v[24:25], v16 offset0:96 offset1:144
	ds_read2_b32 v[26:27], v17 offset0:48 offset1:96
	;; [unrolled: 1-line block ×3, first 2 shown]
	v_lshl_add_u32 v41, v40, 2, 0
	ds_read_b32 v4, v41
	v_mul_i32_i24_e32 v16, 0xffffffc4, v3
	v_mul_f32_e32 v49, 0x3f3504f3, v45
	v_mul_f32_e32 v50, 0x3f3504f3, v46
	;; [unrolled: 1-line block ×4, first 2 shown]
	v_cmp_gt_u32_e64 s[0:1], 16, v3
	v_add_u32_e32 v42, v34, v16
                                        ; implicit-def: $vgpr46
                                        ; implicit-def: $vgpr17
	s_and_saveexec_b64 s[4:5], s[0:1]
	s_cbranch_execz .LBB0_15
; %bb.14:
	v_add_u32_e32 v5, 0xc0, v42
	ds_read2st64_b32 v[16:17], v5 offset0:3 offset1:7
	ds_read_b32 v46, v42 offset:3008
	s_waitcnt lgkmcnt(1)
	v_mov_b32_e32 v5, v16
.LBB0_15:
	s_or_b64 exec, exec, s[4:5]
	v_sub_f32_e32 v12, v6, v12
	v_sub_f32_e32 v16, v12, v35
	v_fma_f32 v6, v6, 2.0, -v12
	v_fma_f32 v8, v8, 2.0, -v36
	;; [unrolled: 1-line block ×3, first 2 shown]
	v_sub_f32_e32 v8, v6, v8
	v_sub_f32_e32 v35, v12, v52
	v_fma_f32 v19, v19, 2.0, -v39
	v_sub_f32_e32 v39, v35, v51
	v_sub_f32_e32 v51, v8, v31
	v_add_f32_e32 v31, v16, v50
	v_fma_f32 v6, v6, 2.0, -v8
	v_sub_f32_e32 v49, v31, v49
	v_sub_f32_e32 v19, v6, v19
	v_fma_f32 v16, v16, 2.0, -v49
	v_fma_f32 v6, v6, 2.0, -v19
	;; [unrolled: 1-line block ×4, first 2 shown]
	v_mov_b32_e32 v44, v16
	v_fma_f32 v8, v8, 2.0, -v51
	v_sub_f32_e32 v35, v6, v31
	v_mov_b32_e32 v36, v12
	v_fmac_f32_e32 v44, 0xbec3ef15, v38
	v_fma_f32 v31, v6, 2.0, -v35
	v_fmac_f32_e32 v36, 0xbf6c835e, v33
	v_sub_f32_e32 v6, v8, v48
	v_fmac_f32_e32 v44, 0xbf6c835e, v37
	v_sub_f32_e32 v37, v19, v7
	v_mov_b32_e32 v38, v39
	v_mov_b32_e32 v7, v49
	v_fmac_f32_e32 v36, 0xbec3ef15, v32
	v_sub_f32_e32 v43, v6, v47
	v_fmac_f32_e32 v38, 0x3ec3ef15, v13
	v_add_f32_e32 v6, v51, v53
	v_fmac_f32_e32 v7, 0x3f6c835e, v30
	v_fma_f32 v32, v12, 2.0, -v36
	v_fma_f32 v47, v8, 2.0, -v43
	;; [unrolled: 1-line block ×3, first 2 shown]
	v_fmac_f32_e32 v38, 0xbf6c835e, v9
	v_sub_f32_e32 v6, v6, v45
	v_fmac_f32_e32 v7, 0xbec3ef15, v18
	v_fma_f32 v8, v19, 2.0, -v37
	v_fma_f32 v9, v39, 2.0, -v38
	;; [unrolled: 1-line block ×4, first 2 shown]
	s_waitcnt lgkmcnt(0)
	; wave barrier
	s_waitcnt lgkmcnt(0)
	ds_write2_b64 v34, v[31:32], v[47:48] offset1:1
	ds_write2_b64 v34, v[8:9], v[12:13] offset0:2 offset1:3
	ds_write2_b64 v34, v[35:36], v[43:44] offset0:4 offset1:5
	ds_write2_b64 v34, v[37:38], v[6:7] offset0:6 offset1:7
	v_add_u32_e32 v6, 0x400, v42
	v_add_u32_e32 v16, 0x800, v42
	s_waitcnt lgkmcnt(0)
	; wave barrier
	s_waitcnt lgkmcnt(0)
	ds_read2_b32 v[8:9], v42 offset1:48
	ds_read2_b32 v[38:39], v6 offset1:48
	ds_read2st64_b32 v[30:31], v42 offset0:7 offset1:8
	ds_read2_b32 v[36:37], v16 offset0:48 offset1:96
	ds_read2_b32 v[12:13], v42 offset0:96 offset1:144
	;; [unrolled: 1-line block ×4, first 2 shown]
	ds_read_b32 v6, v41
                                        ; implicit-def: $vgpr47
                                        ; implicit-def: $vgpr19
	s_and_saveexec_b64 s[4:5], s[0:1]
	s_cbranch_execz .LBB0_17
; %bb.16:
	v_add_u32_e32 v7, 0xc0, v42
	ds_read2st64_b32 v[18:19], v7 offset0:3 offset1:7
	ds_read_b32 v47, v42 offset:3008
	s_waitcnt lgkmcnt(1)
	v_mov_b32_e32 v7, v18
.LBB0_17:
	s_or_b64 exec, exec, s[4:5]
	v_and_b32_e32 v55, 15, v3
	v_lshlrev_b32_e32 v16, 4, v55
	global_load_dwordx4 v[48:51], v16, s[8:9]
	v_add_u32_e32 v52, 48, v3
	v_add_u32_e32 v53, 0x60, v3
	;; [unrolled: 1-line block ×3, first 2 shown]
	s_waitcnt vmcnt(0)
	v_mul_f32_e32 v16, v28, v49
	s_waitcnt lgkmcnt(6)
	v_fma_f32 v44, v38, v48, -v16
	v_mul_f32_e32 v16, v21, v51
	v_mul_f32_e32 v43, v38, v49
	s_waitcnt lgkmcnt(5)
	v_fma_f32 v45, v31, v50, -v16
	v_mul_f32_e32 v16, v29, v49
	v_fmac_f32_e32 v43, v28, v48
	v_mul_f32_e32 v28, v39, v49
	v_fma_f32 v39, v39, v48, -v16
	v_mul_f32_e32 v16, v26, v51
	v_fmac_f32_e32 v28, v29, v48
	s_waitcnt lgkmcnt(4)
	v_mul_f32_e32 v29, v36, v51
	v_fma_f32 v36, v36, v50, -v16
	v_mul_f32_e32 v16, v24, v49
	v_mul_f32_e32 v38, v31, v51
	s_waitcnt lgkmcnt(2)
	v_fma_f32 v31, v34, v48, -v16
	v_mul_f32_e32 v16, v27, v51
	v_fmac_f32_e32 v38, v21, v50
	v_mul_f32_e32 v21, v34, v49
	v_fma_f32 v34, v37, v50, -v16
	v_mul_f32_e32 v18, v35, v49
	v_mul_f32_e32 v16, v25, v49
	v_fmac_f32_e32 v29, v26, v50
	v_mul_f32_e32 v26, v37, v51
	v_fmac_f32_e32 v18, v25, v48
	v_fma_f32 v25, v35, v48, -v16
	v_mul_f32_e32 v16, v22, v51
	v_fmac_f32_e32 v26, v27, v50
	s_waitcnt lgkmcnt(1)
	v_fma_f32 v27, v32, v50, -v16
	v_mul_f32_e32 v16, v30, v49
	v_fmac_f32_e32 v21, v24, v48
	v_mul_f32_e32 v24, v32, v51
	v_fmac_f32_e32 v16, v20, v48
	;; [unrolled: 2-line block ×3, first 2 shown]
	v_fma_f32 v22, v30, v48, -v20
	v_mul_f32_e32 v20, v33, v51
	v_lshlrev_b32_e32 v30, 4, v3
	v_fmac_f32_e32 v20, v23, v50
	v_mul_f32_e32 v23, v23, v51
	v_and_b32_e32 v30, 0xf0, v30
	v_fma_f32 v23, v33, v50, -v23
	global_load_dwordx4 v[48:51], v30, s[8:9]
	s_waitcnt lgkmcnt(0)
	; wave barrier
	s_waitcnt vmcnt(0) lgkmcnt(0)
	v_mul_f32_e32 v30, v19, v49
	v_fmac_f32_e32 v30, v17, v48
	v_mul_f32_e32 v17, v17, v49
	v_fma_f32 v32, v19, v48, -v17
	v_mul_f32_e32 v17, v46, v51
	v_add_f32_e32 v19, v43, v38
	v_mul_f32_e32 v33, v47, v51
	v_fma_f32 v35, v47, v50, -v17
	v_add_f32_e32 v17, v14, v43
	v_fma_f32 v14, -0.5, v19, v14
	v_fmac_f32_e32 v33, v46, v50
	v_sub_f32_e32 v19, v44, v45
	v_mov_b32_e32 v37, v14
	v_add_f32_e32 v46, v28, v29
	v_fmac_f32_e32 v37, 0xbf5db3d7, v19
	v_fmac_f32_e32 v14, 0x3f5db3d7, v19
	v_add_f32_e32 v19, v15, v28
	v_fmac_f32_e32 v15, -0.5, v46
	v_sub_f32_e32 v46, v39, v36
	v_mov_b32_e32 v48, v15
	v_fmac_f32_e32 v48, 0xbf5db3d7, v46
	v_fmac_f32_e32 v15, 0x3f5db3d7, v46
	v_add_f32_e32 v46, v10, v21
	v_add_f32_e32 v49, v46, v26
	v_add_f32_e32 v46, v21, v26
	v_fma_f32 v10, -0.5, v46, v10
	v_sub_f32_e32 v46, v31, v34
	v_mov_b32_e32 v50, v10
	v_fmac_f32_e32 v50, 0xbf5db3d7, v46
	v_fmac_f32_e32 v10, 0x3f5db3d7, v46
	v_add_f32_e32 v46, v11, v18
	v_add_f32_e32 v51, v46, v24
	;; [unrolled: 1-line block ×3, first 2 shown]
	v_fmac_f32_e32 v11, -0.5, v46
	v_sub_f32_e32 v46, v25, v27
	v_mov_b32_e32 v56, v11
	v_fmac_f32_e32 v56, 0xbf5db3d7, v46
	v_fmac_f32_e32 v11, 0x3f5db3d7, v46
	v_add_f32_e32 v46, v4, v16
	v_add_f32_e32 v57, v46, v20
	;; [unrolled: 1-line block ×3, first 2 shown]
	v_fmac_f32_e32 v4, -0.5, v46
	v_sub_f32_e32 v46, v22, v23
	v_mov_b32_e32 v58, v4
	v_fmac_f32_e32 v58, 0xbf5db3d7, v46
	v_fmac_f32_e32 v4, 0x3f5db3d7, v46
	v_lshrrev_b32_e32 v46, 4, v3
	v_mul_u32_u24_e32 v46, 48, v46
	v_or_b32_e32 v46, v46, v55
	v_add_f32_e32 v17, v17, v38
	v_lshl_add_u32 v46, v46, 2, 0
	ds_write2_b32 v46, v17, v37 offset1:16
	ds_write_b32 v46, v14 offset:128
	v_lshrrev_b32_e32 v14, 4, v52
	v_mul_u32_u24_e32 v14, 48, v14
	v_or_b32_e32 v14, v14, v55
	v_lshl_add_u32 v47, v14, 2, 0
	v_lshrrev_b32_e32 v14, 4, v53
	v_mul_u32_u24_e32 v14, 48, v14
	v_add_f32_e32 v19, v19, v29
	v_or_b32_e32 v14, v14, v55
	ds_write2_b32 v47, v19, v48 offset1:16
	ds_write_b32 v47, v15 offset:128
	v_lshl_add_u32 v48, v14, 2, 0
	ds_write2_b32 v48, v49, v50 offset1:16
	ds_write_b32 v48, v10 offset:128
	v_lshrrev_b32_e32 v10, 4, v54
	v_mul_u32_u24_e32 v10, 48, v10
	v_or_b32_e32 v10, v10, v55
	v_lshl_add_u32 v49, v10, 2, 0
	v_lshrrev_b32_e32 v10, 4, v40
	v_mul_lo_u32 v10, v10, 48
	v_lshl_add_u32 v37, v3, 2, 0
	ds_write2_b32 v49, v51, v56 offset1:16
	ds_write_b32 v49, v11 offset:128
	v_or_b32_e32 v10, v10, v55
	v_lshl_add_u32 v40, v10, 2, 0
	ds_write2_b32 v40, v57, v58 offset1:16
	ds_write_b32 v40, v4 offset:128
	s_and_saveexec_b64 s[4:5], s[0:1]
	s_cbranch_execz .LBB0_19
; %bb.18:
	v_add_f32_e32 v4, v30, v33
	v_fma_f32 v4, -0.5, v4, v5
	v_sub_f32_e32 v10, v32, v35
	v_mov_b32_e32 v11, v4
	v_add_f32_e32 v5, v5, v30
	v_fmac_f32_e32 v11, 0x3f5db3d7, v10
	v_fmac_f32_e32 v4, 0xbf5db3d7, v10
	v_add_f32_e32 v5, v5, v33
	v_add_u32_e32 v10, 0x800, v37
	ds_write2_b32 v10, v5, v4 offset0:208 offset1:224
	ds_write_b32 v37, v11 offset:3008
.LBB0_19:
	s_or_b64 exec, exec, s[4:5]
	v_add_f32_e32 v4, v8, v44
	v_add_f32_e32 v50, v4, v45
	;; [unrolled: 1-line block ×3, first 2 shown]
	v_fma_f32 v44, -0.5, v4, v8
	v_sub_f32_e32 v4, v43, v38
	v_mov_b32_e32 v38, v44
	v_fmac_f32_e32 v38, 0x3f5db3d7, v4
	v_fmac_f32_e32 v44, 0xbf5db3d7, v4
	v_add_f32_e32 v4, v9, v39
	v_add_f32_e32 v43, v4, v36
	;; [unrolled: 1-line block ×3, first 2 shown]
	v_fmac_f32_e32 v9, -0.5, v4
	v_sub_f32_e32 v4, v28, v29
	v_mov_b32_e32 v28, v9
	v_fmac_f32_e32 v28, 0x3f5db3d7, v4
	v_fmac_f32_e32 v9, 0xbf5db3d7, v4
	v_add_f32_e32 v4, v12, v31
	v_add_f32_e32 v29, v4, v34
	;; [unrolled: 1-line block ×3, first 2 shown]
	v_fma_f32 v31, -0.5, v4, v12
	v_sub_f32_e32 v4, v21, v26
	v_mov_b32_e32 v26, v31
	v_fmac_f32_e32 v26, 0x3f5db3d7, v4
	v_fmac_f32_e32 v31, 0xbf5db3d7, v4
	v_add_f32_e32 v4, v13, v25
	v_add_f32_e32 v34, v4, v27
	;; [unrolled: 1-line block ×3, first 2 shown]
	v_fmac_f32_e32 v13, -0.5, v4
	v_sub_f32_e32 v4, v18, v24
	v_mov_b32_e32 v24, v13
	v_fmac_f32_e32 v24, 0x3f5db3d7, v4
	v_fmac_f32_e32 v13, 0xbf5db3d7, v4
	v_add_f32_e32 v4, v6, v22
	v_add_f32_e32 v25, v4, v23
	;; [unrolled: 1-line block ×3, first 2 shown]
	v_fmac_f32_e32 v6, -0.5, v4
	v_sub_f32_e32 v4, v16, v20
	v_mov_b32_e32 v27, v6
	v_fmac_f32_e32 v27, 0x3f5db3d7, v4
	v_fmac_f32_e32 v6, 0xbf5db3d7, v4
	s_waitcnt lgkmcnt(0)
	; wave barrier
	s_waitcnt lgkmcnt(0)
	ds_read2_b32 v[4:5], v42 offset1:48
	ds_read2_b32 v[14:15], v42 offset0:96 offset1:144
	ds_read_b32 v8, v41
	ds_read_b32 v12, v37 offset:960
	v_add_u32_e32 v10, 0x400, v42
	v_add_u32_e32 v18, 0x600, v42
	;; [unrolled: 1-line block ×3, first 2 shown]
	ds_read2_b32 v[16:17], v10 offset0:32 offset1:80
	ds_read2_b32 v[10:11], v10 offset0:128 offset1:176
	;; [unrolled: 1-line block ×5, first 2 shown]
	s_waitcnt lgkmcnt(0)
	; wave barrier
	s_waitcnt lgkmcnt(0)
	ds_write2_b32 v46, v50, v38 offset1:16
	ds_write_b32 v46, v44 offset:128
	ds_write2_b32 v47, v43, v28 offset1:16
	ds_write_b32 v47, v9 offset:128
	;; [unrolled: 2-line block ×5, first 2 shown]
	s_and_saveexec_b64 s[4:5], s[0:1]
	s_cbranch_execz .LBB0_21
; %bb.20:
	v_add_f32_e32 v9, v32, v35
	v_add_f32_e32 v6, v7, v32
	v_fmac_f32_e32 v7, -0.5, v9
	v_sub_f32_e32 v9, v30, v33
	v_mov_b32_e32 v13, v7
	v_add_f32_e32 v6, v6, v35
	v_fmac_f32_e32 v13, 0x3f5db3d7, v9
	v_fmac_f32_e32 v7, 0xbf5db3d7, v9
	v_add_u32_e32 v9, 0x800, v37
	ds_write2_b32 v9, v6, v13 offset0:208 offset1:224
	ds_write_b32 v37, v7 offset:3008
.LBB0_21:
	s_or_b64 exec, exec, s[4:5]
	s_waitcnt lgkmcnt(0)
	; wave barrier
	s_waitcnt lgkmcnt(0)
	s_and_saveexec_b64 s[0:1], vcc
	s_cbranch_execz .LBB0_23
; %bb.22:
	v_mul_u32_u24_e32 v3, 15, v3
	v_lshlrev_b32_e32 v3, 3, v3
	global_load_dwordx4 v[24:27], v3, s[8:9] offset:288
	global_load_dwordx2 v[6:7], v3, s[8:9] offset:368
	global_load_dwordx4 v[28:31], v3, s[8:9] offset:352
	global_load_dwordx4 v[32:35], v3, s[8:9] offset:336
	global_load_dwordx4 v[43:46], v3, s[8:9] offset:256
	global_load_dwordx4 v[47:50], v3, s[8:9] offset:320
	global_load_dwordx4 v[51:54], v3, s[8:9] offset:304
	global_load_dwordx4 v[55:58], v3, s[8:9] offset:272
	v_add_u32_e32 v3, 0x400, v42
	ds_read_b32 v13, v37 offset:960
	ds_read2_b32 v[36:37], v3 offset0:32 offset1:80
	v_add_u32_e32 v9, 0x800, v42
	s_movk_i32 s0, 0x1000
	s_waitcnt vmcnt(7)
	v_mul_f32_e32 v39, v12, v24
	v_mul_f32_e32 v12, v12, v25
	s_waitcnt lgkmcnt(1)
	v_fmac_f32_e32 v39, v13, v25
	v_fma_f32 v25, v13, v24, -v12
	ds_read2_b32 v[12:13], v9 offset0:160 offset1:208
	v_mul_f32_e32 v38, v16, v26
	v_mul_f32_e32 v16, v16, v27
	s_waitcnt lgkmcnt(1)
	v_fma_f32 v16, v36, v26, -v16
	s_waitcnt vmcnt(6)
	v_mul_f32_e32 v26, v23, v6
	v_mul_f32_e32 v23, v23, v7
	v_fmac_f32_e32 v38, v36, v27
	s_waitcnt lgkmcnt(0)
	v_fmac_f32_e32 v26, v13, v7
	v_fma_f32 v27, v13, v6, -v23
	s_waitcnt vmcnt(5)
	v_mul_f32_e32 v36, v22, v30
	v_mul_f32_e32 v13, v22, v31
	ds_read2_b32 v[22:23], v9 offset0:64 offset1:112
	v_fmac_f32_e32 v36, v12, v31
	v_fma_f32 v9, v12, v30, -v13
	v_mul_f32_e32 v30, v21, v28
	v_mul_f32_e32 v12, v21, v29
	ds_read2_b32 v[6:7], v42 offset0:96 offset1:144
	s_waitcnt lgkmcnt(1)
	v_fmac_f32_e32 v30, v23, v29
	v_fma_f32 v28, v23, v28, -v12
	v_add_u32_e32 v21, 0x600, v42
	ds_read2_b32 v[12:13], v42 offset1:48
	ds_read_b32 v29, v41
	ds_read2_b32 v[23:24], v21 offset0:96 offset1:144
	s_waitcnt vmcnt(4)
	v_mul_f32_e32 v31, v20, v34
	v_mul_f32_e32 v40, v20, v35
	ds_read2_b32 v[20:21], v3 offset0:128 offset1:176
	v_fmac_f32_e32 v31, v22, v35
	v_fma_f32 v3, v22, v34, -v40
	v_mul_f32_e32 v22, v19, v33
	s_waitcnt lgkmcnt(1)
	v_mul_f32_e32 v33, v24, v33
	s_waitcnt vmcnt(3)
	v_mul_f32_e32 v34, v13, v44
	v_fma_f32 v22, v24, v32, -v22
	v_fmac_f32_e32 v33, v19, v32
	v_mul_f32_e32 v19, v14, v46
	v_mul_f32_e32 v32, v5, v44
	v_fmac_f32_e32 v34, v5, v43
	s_waitcnt vmcnt(2)
	v_mul_f32_e32 v5, v18, v50
	v_mul_f32_e32 v24, v6, v46
	v_fma_f32 v19, v6, v45, -v19
	v_fma_f32 v13, v13, v43, -v32
	v_mul_f32_e32 v32, v23, v50
	v_fma_f32 v5, v23, v49, -v5
	v_mul_f32_e32 v40, v11, v48
	v_fmac_f32_e32 v24, v14, v45
	s_waitcnt vmcnt(1)
	v_mul_f32_e32 v6, v10, v54
	s_waitcnt vmcnt(0)
	v_mul_f32_e32 v14, v8, v57
	v_fmac_f32_e32 v32, v18, v49
	s_waitcnt lgkmcnt(0)
	v_mul_f32_e32 v18, v21, v48
	v_fma_f32 v21, v21, v47, -v40
	v_sub_f32_e32 v40, v19, v5
	v_mul_f32_e32 v5, v8, v58
	v_fma_f32 v6, v20, v53, -v6
	v_fmac_f32_e32 v14, v29, v58
	v_fma_f32 v29, v29, v57, -v5
	v_mul_f32_e32 v5, v20, v54
	v_mul_f32_e32 v23, v15, v56
	;; [unrolled: 1-line block ×4, first 2 shown]
	v_fmac_f32_e32 v18, v11, v47
	v_sub_f32_e32 v11, v38, v36
	v_sub_f32_e32 v36, v12, v6
	;; [unrolled: 1-line block ×3, first 2 shown]
	v_fmac_f32_e32 v5, v10, v53
	v_fma_f32 v23, v7, v55, -v23
	v_fmac_f32_e32 v35, v37, v52
	v_sub_f32_e32 v42, v36, v31
	v_sub_f32_e32 v21, v13, v21
	;; [unrolled: 1-line block ×3, first 2 shown]
	v_fma_f32 v17, v37, v51, -v17
	v_mul_f32_e32 v47, v7, v56
	v_sub_f32_e32 v3, v29, v3
	v_sub_f32_e32 v20, v4, v5
	;; [unrolled: 1-line block ×7, first 2 shown]
	v_mov_b32_e32 v44, v42
	v_sub_f32_e32 v37, v21, v30
	v_sub_f32_e32 v27, v17, v27
	v_fmac_f32_e32 v47, v15, v55
	v_sub_f32_e32 v28, v25, v28
	v_sub_f32_e32 v18, v34, v18
	v_add_f32_e32 v50, v20, v3
	v_add_f32_e32 v43, v32, v9
	v_fmac_f32_e32 v44, 0x3f3504f3, v41
	v_sub_f32_e32 v45, v22, v26
	v_mov_b32_e32 v46, v37
	v_sub_f32_e32 v15, v47, v33
	v_add_f32_e32 v48, v18, v28
	v_mov_b32_e32 v51, v50
	v_fma_f32 v24, v24, 2.0, -v32
	v_fma_f32 v10, v38, 2.0, -v11
	;; [unrolled: 1-line block ×4, first 2 shown]
	v_fmac_f32_e32 v44, 0xbf3504f3, v43
	v_fmac_f32_e32 v46, 0x3f3504f3, v45
	v_add_f32_e32 v33, v15, v27
	v_mov_b32_e32 v49, v48
	v_fmac_f32_e32 v51, 0x3f3504f3, v43
	v_fma_f32 v52, v12, 2.0, -v36
	v_fma_f32 v3, v29, 2.0, -v3
	v_sub_f32_e32 v29, v24, v10
	v_fma_f32 v53, v13, 2.0, -v21
	v_fma_f32 v10, v25, 2.0, -v28
	v_sub_f32_e32 v17, v23, v11
	v_fma_f32 v27, v34, 2.0, -v18
	v_fma_f32 v11, v39, 2.0, -v30
	;; [unrolled: 1-line block ×4, first 2 shown]
	v_fmac_f32_e32 v46, 0xbf3504f3, v33
	v_fmac_f32_e32 v49, 0x3f3504f3, v33
	;; [unrolled: 1-line block ×3, first 2 shown]
	v_sub_f32_e32 v3, v52, v3
	v_sub_f32_e32 v25, v53, v10
	v_fma_f32 v28, v47, 2.0, -v15
	v_fma_f32 v10, v35, 2.0, -v26
	v_sub_f32_e32 v30, v27, v11
	v_sub_f32_e32 v39, v19, v9
	v_fma_f32 v4, v4, 2.0, -v20
	v_fma_f32 v9, v14, 2.0, -v31
	v_fma_f32 v13, v40, 2.0, -v41
	v_fma_f32 v41, v21, 2.0, -v37
	v_fma_f32 v21, v42, 2.0, -v44
	v_fmac_f32_e32 v49, 0x3f3504f3, v45
	v_sub_f32_e32 v26, v28, v10
	v_add_f32_e32 v34, v17, v30
	v_sub_f32_e32 v31, v4, v9
	v_fma_f32 v16, v22, 2.0, -v45
	v_fma_f32 v15, v15, 2.0, -v33
	;; [unrolled: 1-line block ×7, first 2 shown]
	v_mov_b32_e32 v22, v21
	v_sub_f32_e32 v35, v25, v26
	v_add_f32_e32 v47, v39, v31
	v_sub_f32_e32 v39, v52, v18
	v_fma_f32 v18, v28, 2.0, -v26
	v_fmac_f32_e32 v22, 0xbec3ef15, v23
	v_fma_f32 v26, v48, 2.0, -v49
	v_fma_f32 v56, v27, 2.0, -v30
	v_fmac_f32_e32 v22, 0xbf6c835e, v26
	v_fma_f32 v27, v50, 2.0, -v51
	v_fma_f32 v19, v24, 2.0, -v29
	;; [unrolled: 1-line block ×3, first 2 shown]
	v_mov_b32_e32 v21, v27
	v_sub_f32_e32 v38, v3, v29
	v_fmac_f32_e32 v21, 0xbec3ef15, v26
	v_fmac_f32_e32 v21, 0x3f6c835e, v23
	v_fma_f32 v3, v3, 2.0, -v38
	v_fma_f32 v23, v27, 2.0, -v21
	;; [unrolled: 1-line block ×3, first 2 shown]
	v_mov_b32_e32 v26, v3
	v_fmac_f32_e32 v26, 0xbf3504f3, v27
	v_fma_f32 v29, v30, 2.0, -v34
	v_fmac_f32_e32 v26, 0xbf3504f3, v29
	v_fma_f32 v36, v36, 2.0, -v42
	v_fma_f32 v28, v3, 2.0, -v26
	;; [unrolled: 1-line block ×3, first 2 shown]
	v_mov_b32_e32 v40, v36
	v_fma_f32 v53, v53, 2.0, -v25
	v_mov_b32_e32 v25, v3
	v_fmac_f32_e32 v40, 0xbf3504f3, v13
	v_fma_f32 v32, v32, 2.0, -v43
	v_mov_b32_e32 v43, v41
	v_fmac_f32_e32 v25, 0xbf3504f3, v29
	v_fmac_f32_e32 v40, 0xbf3504f3, v32
	;; [unrolled: 1-line block ×3, first 2 shown]
	v_mov_b32_e32 v45, v33
	v_fmac_f32_e32 v25, 0x3f3504f3, v27
	v_fmac_f32_e32 v43, 0xbf3504f3, v15
	;; [unrolled: 1-line block ×3, first 2 shown]
	v_fma_f32 v54, v20, 2.0, -v50
	v_fma_f32 v27, v3, 2.0, -v25
	;; [unrolled: 1-line block ×3, first 2 shown]
	v_fmac_f32_e32 v45, 0x3f3504f3, v16
	v_mov_b32_e32 v55, v54
	v_fma_f32 v4, v4, 2.0, -v31
	v_fma_f32 v31, v41, 2.0, -v43
	v_mov_b32_e32 v30, v3
	v_fmac_f32_e32 v55, 0xbf3504f3, v32
	v_fmac_f32_e32 v30, 0xbf6c835e, v31
	v_fma_f32 v33, v33, 2.0, -v45
	v_fmac_f32_e32 v55, 0x3f3504f3, v13
	v_fmac_f32_e32 v30, 0xbec3ef15, v33
	v_fma_f32 v32, v3, 2.0, -v30
	v_fma_f32 v3, v54, 2.0, -v55
	v_mov_b32_e32 v29, v3
	v_fmac_f32_e32 v29, 0xbf6c835e, v33
	v_mov_b32_e32 v10, v38
	v_sub_f32_e32 v59, v53, v17
	v_fmac_f32_e32 v29, 0x3ec3ef15, v31
	v_fmac_f32_e32 v10, 0x3f3504f3, v35
	v_mov_b32_e32 v9, v47
	v_fma_f32 v31, v3, 2.0, -v29
	v_fma_f32 v3, v52, 2.0, -v39
	;; [unrolled: 1-line block ×3, first 2 shown]
	v_fmac_f32_e32 v10, 0xbf3504f3, v34
	v_fmac_f32_e32 v9, 0x3f3504f3, v34
	v_sub_f32_e32 v57, v56, v18
	v_sub_f32_e32 v58, v4, v19
	;; [unrolled: 1-line block ×3, first 2 shown]
	v_fma_f32 v36, v3, 2.0, -v34
	v_fma_f32 v3, v4, 2.0, -v58
	v_fma_f32 v4, v56, 2.0, -v57
	v_sub_f32_e32 v33, v3, v4
	v_fmac_f32_e32 v9, 0x3f3504f3, v35
	v_fma_f32 v35, v3, 2.0, -v33
	v_mov_b32_e32 v3, 0
	v_mov_b32_e32 v4, s3
	v_add_co_u32_e32 v37, vcc, s2, v0
	v_addc_co_u32_e32 v4, vcc, v4, v1, vcc
	v_lshlrev_b64 v[0:1], 3, v[2:3]
	v_mov_b32_e32 v6, v44
	v_mov_b32_e32 v5, v51
	;; [unrolled: 1-line block ×4, first 2 shown]
	v_fmac_f32_e32 v6, 0x3f6c835e, v46
	v_fmac_f32_e32 v5, 0x3f6c835e, v49
	;; [unrolled: 1-line block ×4, first 2 shown]
	v_add_co_u32_e32 v0, vcc, v37, v0
	v_fmac_f32_e32 v6, 0xbec3ef15, v49
	v_fmac_f32_e32 v5, 0x3ec3ef15, v46
	v_fmac_f32_e32 v14, 0xbf6c835e, v45
	v_fmac_f32_e32 v13, 0x3f6c835e, v43
	v_sub_f32_e32 v18, v39, v57
	v_add_f32_e32 v17, v58, v59
	v_addc_co_u32_e32 v1, vcc, v4, v1, vcc
	v_or_b32_e32 v2, 0x240, v2
	v_fma_f32 v8, v44, 2.0, -v6
	v_fma_f32 v7, v51, 2.0, -v5
	;; [unrolled: 1-line block ×8, first 2 shown]
	global_store_dwordx2 v[0:1], v[35:36], off
	global_store_dwordx2 v[0:1], v[31:32], off offset:384
	global_store_dwordx2 v[0:1], v[27:28], off offset:768
	;; [unrolled: 1-line block ×10, first 2 shown]
	v_add_co_u32_e32 v0, vcc, s0, v0
	v_lshlrev_b64 v[2:3], 3, v[2:3]
	v_addc_co_u32_e32 v1, vcc, 0, v1, vcc
	v_add_co_u32_e32 v2, vcc, v37, v2
	v_addc_co_u32_e32 v3, vcc, v4, v3, vcc
	global_store_dwordx2 v[0:1], v[21:22], off offset:128
	global_store_dwordx2 v[2:3], v[17:18], off
	global_store_dwordx2 v[0:1], v[13:14], off offset:896
	global_store_dwordx2 v[0:1], v[9:10], off offset:1280
	;; [unrolled: 1-line block ×3, first 2 shown]
.LBB0_23:
	s_endpgm
	.section	.rodata,"a",@progbits
	.p2align	6, 0x0
	.amdhsa_kernel fft_rtc_back_len768_factors_16_3_16_wgs_48_tpt_48_halfLds_sp_ip_CI_unitstride_sbrr_dirReg
		.amdhsa_group_segment_fixed_size 0
		.amdhsa_private_segment_fixed_size 0
		.amdhsa_kernarg_size 88
		.amdhsa_user_sgpr_count 6
		.amdhsa_user_sgpr_private_segment_buffer 1
		.amdhsa_user_sgpr_dispatch_ptr 0
		.amdhsa_user_sgpr_queue_ptr 0
		.amdhsa_user_sgpr_kernarg_segment_ptr 1
		.amdhsa_user_sgpr_dispatch_id 0
		.amdhsa_user_sgpr_flat_scratch_init 0
		.amdhsa_user_sgpr_private_segment_size 0
		.amdhsa_uses_dynamic_stack 0
		.amdhsa_system_sgpr_private_segment_wavefront_offset 0
		.amdhsa_system_sgpr_workgroup_id_x 1
		.amdhsa_system_sgpr_workgroup_id_y 0
		.amdhsa_system_sgpr_workgroup_id_z 0
		.amdhsa_system_sgpr_workgroup_info 0
		.amdhsa_system_vgpr_workitem_id 0
		.amdhsa_next_free_vgpr 60
		.amdhsa_next_free_sgpr 22
		.amdhsa_reserve_vcc 1
		.amdhsa_reserve_flat_scratch 0
		.amdhsa_float_round_mode_32 0
		.amdhsa_float_round_mode_16_64 0
		.amdhsa_float_denorm_mode_32 3
		.amdhsa_float_denorm_mode_16_64 3
		.amdhsa_dx10_clamp 1
		.amdhsa_ieee_mode 1
		.amdhsa_fp16_overflow 0
		.amdhsa_exception_fp_ieee_invalid_op 0
		.amdhsa_exception_fp_denorm_src 0
		.amdhsa_exception_fp_ieee_div_zero 0
		.amdhsa_exception_fp_ieee_overflow 0
		.amdhsa_exception_fp_ieee_underflow 0
		.amdhsa_exception_fp_ieee_inexact 0
		.amdhsa_exception_int_div_zero 0
	.end_amdhsa_kernel
	.text
.Lfunc_end0:
	.size	fft_rtc_back_len768_factors_16_3_16_wgs_48_tpt_48_halfLds_sp_ip_CI_unitstride_sbrr_dirReg, .Lfunc_end0-fft_rtc_back_len768_factors_16_3_16_wgs_48_tpt_48_halfLds_sp_ip_CI_unitstride_sbrr_dirReg
                                        ; -- End function
	.section	.AMDGPU.csdata,"",@progbits
; Kernel info:
; codeLenInByte = 6084
; NumSgprs: 26
; NumVgprs: 60
; ScratchSize: 0
; MemoryBound: 0
; FloatMode: 240
; IeeeMode: 1
; LDSByteSize: 0 bytes/workgroup (compile time only)
; SGPRBlocks: 3
; VGPRBlocks: 14
; NumSGPRsForWavesPerEU: 26
; NumVGPRsForWavesPerEU: 60
; Occupancy: 4
; WaveLimiterHint : 1
; COMPUTE_PGM_RSRC2:SCRATCH_EN: 0
; COMPUTE_PGM_RSRC2:USER_SGPR: 6
; COMPUTE_PGM_RSRC2:TRAP_HANDLER: 0
; COMPUTE_PGM_RSRC2:TGID_X_EN: 1
; COMPUTE_PGM_RSRC2:TGID_Y_EN: 0
; COMPUTE_PGM_RSRC2:TGID_Z_EN: 0
; COMPUTE_PGM_RSRC2:TIDIG_COMP_CNT: 0
	.type	__hip_cuid_4eef5de6830bc2fa,@object ; @__hip_cuid_4eef5de6830bc2fa
	.section	.bss,"aw",@nobits
	.globl	__hip_cuid_4eef5de6830bc2fa
__hip_cuid_4eef5de6830bc2fa:
	.byte	0                               ; 0x0
	.size	__hip_cuid_4eef5de6830bc2fa, 1

	.ident	"AMD clang version 19.0.0git (https://github.com/RadeonOpenCompute/llvm-project roc-6.4.0 25133 c7fe45cf4b819c5991fe208aaa96edf142730f1d)"
	.section	".note.GNU-stack","",@progbits
	.addrsig
	.addrsig_sym __hip_cuid_4eef5de6830bc2fa
	.amdgpu_metadata
---
amdhsa.kernels:
  - .args:
      - .actual_access:  read_only
        .address_space:  global
        .offset:         0
        .size:           8
        .value_kind:     global_buffer
      - .offset:         8
        .size:           8
        .value_kind:     by_value
      - .actual_access:  read_only
        .address_space:  global
        .offset:         16
        .size:           8
        .value_kind:     global_buffer
      - .actual_access:  read_only
        .address_space:  global
        .offset:         24
        .size:           8
        .value_kind:     global_buffer
      - .offset:         32
        .size:           8
        .value_kind:     by_value
      - .actual_access:  read_only
        .address_space:  global
        .offset:         40
        .size:           8
        .value_kind:     global_buffer
      - .actual_access:  read_only
        .address_space:  global
        .offset:         48
        .size:           8
        .value_kind:     global_buffer
      - .offset:         56
        .size:           4
        .value_kind:     by_value
      - .actual_access:  read_only
        .address_space:  global
        .offset:         64
        .size:           8
        .value_kind:     global_buffer
      - .actual_access:  read_only
        .address_space:  global
        .offset:         72
        .size:           8
        .value_kind:     global_buffer
      - .address_space:  global
        .offset:         80
        .size:           8
        .value_kind:     global_buffer
    .group_segment_fixed_size: 0
    .kernarg_segment_align: 8
    .kernarg_segment_size: 88
    .language:       OpenCL C
    .language_version:
      - 2
      - 0
    .max_flat_workgroup_size: 48
    .name:           fft_rtc_back_len768_factors_16_3_16_wgs_48_tpt_48_halfLds_sp_ip_CI_unitstride_sbrr_dirReg
    .private_segment_fixed_size: 0
    .sgpr_count:     26
    .sgpr_spill_count: 0
    .symbol:         fft_rtc_back_len768_factors_16_3_16_wgs_48_tpt_48_halfLds_sp_ip_CI_unitstride_sbrr_dirReg.kd
    .uniform_work_group_size: 1
    .uses_dynamic_stack: false
    .vgpr_count:     60
    .vgpr_spill_count: 0
    .wavefront_size: 64
amdhsa.target:   amdgcn-amd-amdhsa--gfx906
amdhsa.version:
  - 1
  - 2
...

	.end_amdgpu_metadata
